;; amdgpu-corpus repo=ROCm/rocFFT kind=compiled arch=gfx950 opt=O3
	.text
	.amdgcn_target "amdgcn-amd-amdhsa--gfx950"
	.amdhsa_code_object_version 6
	.protected	bluestein_single_back_len18_dim1_sp_op_CI_CI ; -- Begin function bluestein_single_back_len18_dim1_sp_op_CI_CI
	.globl	bluestein_single_back_len18_dim1_sp_op_CI_CI
	.p2align	8
	.type	bluestein_single_back_len18_dim1_sp_op_CI_CI,@function
bluestein_single_back_len18_dim1_sp_op_CI_CI: ; @bluestein_single_back_len18_dim1_sp_op_CI_CI
; %bb.0:
	s_load_dwordx4 s[8:11], s[0:1], 0x28
	v_mul_u32_u24_e32 v1, 0x2aab, v0
	v_lshrrev_b32_e32 v2, 16, v1
	v_mad_u64_u32 v[20:21], s[2:3], s2, 10, v[2:3]
	v_mov_b32_e32 v29, 0
	v_mov_b32_e32 v21, v29
	s_waitcnt lgkmcnt(0)
	v_cmp_gt_u64_e32 vcc, s[8:9], v[20:21]
	s_and_saveexec_b64 s[2:3], vcc
	s_cbranch_execz .LBB0_10
; %bb.1:
	s_load_dwordx4 s[4:7], s[0:1], 0x18
	s_load_dwordx2 s[12:13], s[0:1], 0x0
	v_mul_lo_u16_e32 v1, 6, v2
	v_sub_u16_e32 v21, v0, v1
	v_mov_b32_e32 v4, s10
	s_waitcnt lgkmcnt(0)
	s_load_dwordx4 s[16:19], s[4:5], 0x0
	v_mov_b32_e32 v5, s11
	v_lshlrev_b32_e32 v28, 3, v21
	global_load_dwordx2 v[26:27], v28, s[12:13]
	s_load_dwordx2 s[8:9], s[0:1], 0x38
	s_waitcnt lgkmcnt(0)
	v_mad_u64_u32 v[0:1], s[2:3], s18, v20, 0
	v_mov_b32_e32 v2, v1
	v_mad_u64_u32 v[2:3], s[2:3], s19, v20, v[2:3]
	v_mov_b32_e32 v1, v2
	;; [unrolled: 2-line block ×4, first 2 shown]
	v_lshl_add_u64 v[0:1], v[0:1], 3, v[4:5]
	v_lshl_add_u64 v[0:1], v[2:3], 3, v[0:1]
	global_load_dwordx2 v[2:3], v[0:1], off
	v_mad_u64_u32 v[0:1], s[2:3], s16, 48, v[0:1]
	s_mul_i32 s4, s17, 48
	v_add_u32_e32 v1, s4, v1
	global_load_dwordx2 v[4:5], v[0:1], off
	global_load_dwordx2 v[24:25], v28, s[12:13] offset:48
	v_mad_u64_u32 v[0:1], s[2:3], s16, 48, v[0:1]
	v_add_u32_e32 v1, s4, v1
	global_load_dwordx2 v[22:23], v28, s[12:13] offset:96
	global_load_dwordx2 v[6:7], v[0:1], off
	s_mov_b32 s3, 0xcccccccd
	v_mul_hi_u32 v0, v20, s3
	v_lshrrev_b32_e32 v0, 3, v0
	v_mul_lo_u32 v0, v0, 10
	v_sub_u32_e32 v0, v20, v0
	v_mul_u32_u24_e32 v0, 18, v0
	v_lshlrev_b32_e32 v42, 3, v0
	v_add_u32_e32 v40, v28, v42
	s_load_dwordx4 s[4:7], s[6:7], 0x0
	s_mov_b32 s2, 0x3f5db3d7
	v_mul_lo_u16_e32 v8, 3, v21
	v_cmp_gt_u16_e32 vcc, 3, v21
	v_lshl_add_u32 v41, v8, 3, v42
	s_waitcnt vmcnt(4)
	v_mul_f32_e32 v0, v3, v27
	v_mul_f32_e32 v1, v2, v27
	v_fmac_f32_e32 v0, v2, v26
	v_fma_f32 v1, v3, v26, -v1
	s_waitcnt vmcnt(2)
	v_mul_f32_e32 v2, v5, v25
	v_mul_f32_e32 v3, v4, v25
	v_fmac_f32_e32 v2, v4, v24
	v_fma_f32 v3, v5, v24, -v3
	ds_write2_b64 v40, v[0:1], v[2:3] offset1:6
	s_waitcnt vmcnt(0)
	v_mul_f32_e32 v0, v7, v23
	v_mul_f32_e32 v1, v6, v23
	v_fmac_f32_e32 v0, v6, v22
	v_fma_f32 v1, v7, v22, -v1
	ds_write_b64 v40, v[0:1] offset:96
	s_waitcnt lgkmcnt(0)
	; wave barrier
	s_waitcnt lgkmcnt(0)
	ds_read2_b64 v[0:3], v40 offset1:6
	ds_read_b64 v[4:5], v40 offset:96
	s_waitcnt lgkmcnt(0)
	; wave barrier
	s_waitcnt lgkmcnt(0)
	v_pk_add_f32 v[6:7], v[0:1], v[2:3]
	v_pk_add_f32 v[10:11], v[2:3], v[4:5]
	v_pk_add_f32 v[2:3], v[2:3], v[4:5] neg_lo:[0,1] neg_hi:[0,1]
	v_pk_fma_f32 v[0:1], -0.5, v[10:11], v[0:1] op_sel_hi:[0,1,1]
	v_pk_mul_f32 v[2:3], v[2:3], s[2:3] op_sel_hi:[1,0]
	v_pk_add_f32 v[8:9], v[6:7], v[4:5]
	v_pk_add_f32 v[12:13], v[0:1], v[2:3] op_sel:[0,1] op_sel_hi:[1,0] neg_lo:[0,1] neg_hi:[0,1]
	v_pk_add_f32 v[32:33], v[0:1], v[2:3] op_sel:[0,1] op_sel_hi:[1,0]
	v_mov_b32_e32 v1, v13
	v_mov_b32_e32 v0, v32
	v_cmp_lt_u16_e64 s[2:3], 2, v21
	v_mov_b32_e32 v2, v12
	v_mov_b32_e32 v3, v33
	ds_write2_b64 v41, v[8:9], v[0:1] offset1:1
	ds_write_b64 v41, v[2:3] offset:16
	s_waitcnt lgkmcnt(0)
	; wave barrier
	s_waitcnt lgkmcnt(0)
	s_and_saveexec_b64 s[10:11], s[2:3]
	s_xor_b64 s[10:11], exec, s[10:11]
	s_or_saveexec_b64 s[10:11], s[10:11]
	s_load_dwordx2 s[0:1], s[0:1], 0x8
                                        ; implicit-def: $vgpr10
                                        ; implicit-def: $vgpr16
                                        ; implicit-def: $vgpr36
                                        ; implicit-def: $vgpr38
	s_xor_b64 exec, exec, s[10:11]
	s_cbranch_execz .LBB0_3
; %bb.2:
	ds_read2_b64 v[8:11], v40 offset1:3
	ds_read2_b64 v[12:15], v40 offset0:6 offset1:9
	ds_read2_b64 v[16:19], v40 offset0:12 offset1:15
	s_waitcnt lgkmcnt(0)
	v_mov_b32_e32 v32, v10
	v_mov_b32_e32 v33, v13
	;; [unrolled: 1-line block ×6, first 2 shown]
.LBB0_3:
	s_or_b64 exec, exec, s[10:11]
	v_add_u32_e32 v0, -3, v21
	v_cndmask_b32_e32 v0, v0, v21, vcc
	v_mul_hi_i32_i24_e32 v1, 40, v0
	v_mul_i32_i24_e32 v0, 40, v0
	s_waitcnt lgkmcnt(0)
	v_lshl_add_u64 v[34:35], s[0:1], 0, v[0:1]
	global_load_dwordx4 v[0:3], v[34:35], off
	global_load_dwordx4 v[4:7], v[34:35], off offset:16
	global_load_dwordx2 v[30:31], v[34:35], off offset:32
	s_mov_b32 s0, 0x3f5db3d7
	s_mov_b32 s10, 0.5
	s_mov_b32 s11, s0
	v_lshl_add_u64 v[34:35], s[12:13], 0, v[28:29]
	s_waitcnt vmcnt(2)
	v_pk_mul_f32 v[44:45], v[12:13], v[0:1] op_sel:[1,0]
	v_pk_mul_f32 v[46:47], v[32:33], v[2:3] op_sel:[1,0]
	s_waitcnt vmcnt(1)
	v_pk_mul_f32 v[10:11], v[10:11], v[4:5] op_sel_hi:[0,1]
	v_pk_mul_f32 v[36:37], v[36:37], v[6:7] op_sel_hi:[0,1]
	s_waitcnt vmcnt(0)
	v_pk_mul_f32 v[38:39], v[38:39], v[30:31] op_sel_hi:[0,1]
	v_pk_fma_f32 v[48:49], v[32:33], v[0:1], v[44:45] op_sel:[0,0,1] op_sel_hi:[1,1,0] neg_lo:[0,0,1] neg_hi:[0,0,1]
	v_pk_fma_f32 v[32:33], v[32:33], v[0:1], v[44:45] op_sel:[0,0,1] op_sel_hi:[0,1,0]
	v_pk_fma_f32 v[44:45], v[12:13], v[2:3], v[46:47] op_sel:[0,0,1] op_sel_hi:[1,1,0] neg_lo:[0,0,1] neg_hi:[0,0,1]
	v_pk_fma_f32 v[12:13], v[12:13], v[2:3], v[46:47] op_sel:[0,0,1] op_sel_hi:[0,1,0]
	;; [unrolled: 2-line block ×5, first 2 shown]
	v_mov_b32_e32 v45, v13
	v_mov_b32_e32 v47, v11
	;; [unrolled: 1-line block ×5, first 2 shown]
	v_pk_add_f32 v[10:11], v[8:9], v[44:45]
	v_pk_add_f32 v[18:19], v[44:45], v[14:15]
	v_pk_add_f32 v[32:33], v[44:45], v[14:15] neg_lo:[0,1] neg_hi:[0,1]
	v_pk_add_f32 v[38:39], v[46:47], v[36:37]
	v_pk_add_f32 v[16:17], v[48:49], v[46:47]
	v_pk_add_f32 v[44:45], v[46:47], v[36:37] neg_lo:[0,1] neg_hi:[0,1]
	v_pk_add_f32 v[12:13], v[10:11], v[14:15]
	v_pk_fma_f32 v[8:9], v[18:19], 0.5, v[8:9] op_sel_hi:[1,0,1] neg_lo:[1,0,0] neg_hi:[1,0,0]
	v_pk_mul_f32 v[10:11], v[32:33], s[0:1] op_sel_hi:[1,0]
	v_pk_fma_f32 v[14:15], v[38:39], 0.5, v[48:49] op_sel_hi:[1,0,1] neg_lo:[1,0,0] neg_hi:[1,0,0]
	v_pk_add_f32 v[16:17], v[16:17], v[36:37]
	v_pk_add_f32 v[36:37], v[8:9], v[10:11] op_sel:[0,1] op_sel_hi:[1,0]
	v_pk_add_f32 v[18:19], v[8:9], v[10:11] op_sel:[0,1] op_sel_hi:[1,0] neg_lo:[0,1] neg_hi:[0,1]
	v_pk_fma_f32 v[10:11], v[44:45], s[0:1], v[14:15] op_sel:[0,0,1] op_sel_hi:[1,0,0]
	v_pk_fma_f32 v[14:15], v[44:45], s[0:1], v[14:15] op_sel:[0,0,1] op_sel_hi:[1,0,0] neg_lo:[1,0,0] neg_hi:[1,0,0]
	s_mov_b32 s1, s10
	v_mov_b32_e32 v38, v10
	v_mov_b32_e32 v39, v15
	v_pk_mul_f32 v[10:11], v[10:11], s[10:11] op_sel:[1,0]
	v_mov_b32_e32 v32, v36
	v_mov_b32_e32 v33, v19
	;; [unrolled: 1-line block ×3, first 2 shown]
	v_pk_fma_f32 v[36:37], v[14:15], s[0:1], v[10:11]
	v_pk_fma_f32 v[10:11], v[14:15], s[0:1], v[10:11] op_sel_hi:[0,1,1] neg_lo:[0,0,1] neg_hi:[0,0,1]
	s_mov_b32 s1, 0xbf5db3d7
	v_pk_mul_f32 v[14:15], v[38:39], 0.5 op_sel_hi:[1,0]
	v_mov_b32_e32 v37, v11
	v_pk_fma_f32 v[38:39], v[38:39], s[0:1], v[14:15] op_sel:[0,0,1] op_sel_hi:[1,1,0] neg_lo:[0,0,1] neg_hi:[0,0,1]
	v_pk_add_f32 v[8:9], v[12:13], v[16:17] neg_lo:[0,1] neg_hi:[0,1]
	v_pk_add_f32 v[14:15], v[32:33], v[36:37] neg_lo:[0,1] neg_hi:[0,1]
	;; [unrolled: 1-line block ×3, first 2 shown]
	s_and_saveexec_b64 s[10:11], vcc
	s_cbranch_execz .LBB0_5
; %bb.4:
	v_pk_add_f32 v[12:13], v[12:13], v[16:17]
	v_lshl_add_u32 v29, v21, 3, v42
	v_pk_add_f32 v[16:17], v[32:33], v[36:37]
	ds_write_b64 v29, v[16:17] offset:24
	v_pk_add_f32 v[16:17], v[18:19], v[38:39]
	ds_write2_b64 v40, v[12:13], v[16:17] offset1:6
	ds_write_b64 v29, v[8:9] offset:72
	ds_write_b64 v40, v[14:15] offset:96
	;; [unrolled: 1-line block ×3, first 2 shown]
.LBB0_5:
	s_or_b64 exec, exec, s[10:11]
	s_waitcnt lgkmcnt(0)
	; wave barrier
	s_waitcnt lgkmcnt(0)
	global_load_dwordx2 v[12:13], v[34:35], off offset:144
	s_add_u32 s10, s12, 0x90
	s_addc_u32 s11, s13, 0
	global_load_dwordx2 v[34:35], v28, s[10:11] offset:48
	global_load_dwordx2 v[36:37], v28, s[10:11] offset:96
	ds_read_b64 v[16:17], v40
	v_lshl_add_u32 v32, v21, 3, v42
	s_waitcnt vmcnt(2) lgkmcnt(0)
	v_mul_f32_e32 v18, v17, v13
	v_mul_f32_e32 v19, v16, v13
	v_fma_f32 v18, v16, v12, -v18
	v_fmac_f32_e32 v19, v17, v12
	ds_write_b64 v40, v[18:19]
	ds_read2_b64 v[16:19], v32 offset0:6 offset1:12
	s_waitcnt vmcnt(1) lgkmcnt(0)
	v_mul_f32_e32 v12, v17, v35
	v_mul_f32_e32 v13, v16, v35
	s_waitcnt vmcnt(0)
	v_mul_f32_e32 v28, v19, v37
	v_mul_f32_e32 v29, v18, v37
	v_fma_f32 v12, v16, v34, -v12
	v_fmac_f32_e32 v13, v17, v34
	v_fma_f32 v28, v18, v36, -v28
	v_fmac_f32_e32 v29, v19, v36
	ds_write2_b64 v32, v[12:13], v[28:29] offset0:6 offset1:12
	s_waitcnt lgkmcnt(0)
	; wave barrier
	s_waitcnt lgkmcnt(0)
	ds_read_b64 v[12:13], v40
	ds_read2_b64 v[16:19], v32 offset0:6 offset1:12
	s_waitcnt lgkmcnt(0)
	; wave barrier
	s_waitcnt lgkmcnt(0)
	v_pk_add_f32 v[34:35], v[16:17], v[18:19]
	v_pk_add_f32 v[28:29], v[12:13], v[16:17]
	v_pk_add_f32 v[36:37], v[16:17], v[18:19] neg_lo:[0,1] neg_hi:[0,1]
	v_pk_fma_f32 v[12:13], -0.5, v[34:35], v[12:13] op_sel_hi:[0,1,1]
	v_pk_add_f32 v[16:17], v[28:29], v[18:19]
	v_pk_fma_f32 v[28:29], v[36:37], s[0:1], v[12:13] op_sel:[0,0,1] op_sel_hi:[1,0,0]
	v_pk_fma_f32 v[12:13], v[36:37], s[0:1], v[12:13] op_sel:[0,0,1] op_sel_hi:[1,0,0] neg_lo:[1,0,0] neg_hi:[1,0,0]
	v_mov_b32_e32 v19, v28
	v_mov_b32_e32 v18, v13
	;; [unrolled: 1-line block ×4, first 2 shown]
	ds_write2_b64 v41, v[16:17], v[18:19] offset1:1
	ds_write_b64 v41, v[34:35] offset:16
	s_waitcnt lgkmcnt(0)
	; wave barrier
	s_waitcnt lgkmcnt(0)
	s_and_saveexec_b64 s[0:1], s[2:3]
	s_xor_b64 s[0:1], exec, s[0:1]
	s_andn2_saveexec_b64 s[0:1], s[0:1]
	s_cbranch_execz .LBB0_7
; %bb.6:
	ds_read2_b64 v[16:19], v40 offset1:3
	ds_read2_b64 v[12:15], v32 offset0:6 offset1:12
	ds_read2_b64 v[8:11], v40 offset0:9 offset1:15
	s_waitcnt lgkmcnt(2)
	v_mov_b32_e32 v28, v19
	s_waitcnt lgkmcnt(1)
	v_mov_b32_e32 v29, v12
	v_mov_b32_e32 v12, v13
	;; [unrolled: 1-line block ×3, first 2 shown]
.LBB0_7:
	s_or_b64 exec, exec, s[0:1]
	s_and_saveexec_b64 s[0:1], vcc
	s_cbranch_execz .LBB0_9
; %bb.8:
	v_pk_mul_f32 v[18:19], v[2:3], v[12:13] op_sel_hi:[1,0]
	v_pk_mul_f32 v[34:35], v[6:7], v[14:15] op_sel:[0,1]
	v_pk_fma_f32 v[44:45], v[2:3], v[28:29], v[18:19] op_sel:[0,1,1] op_sel_hi:[1,1,0]
	v_pk_fma_f32 v[2:3], v[2:3], v[28:29], v[18:19] op_sel:[0,1,1] op_sel_hi:[1,1,0] neg_lo:[1,0,0] neg_hi:[1,0,0]
	s_waitcnt lgkmcnt(0)
	v_pk_mul_f32 v[38:39], v[4:5], v[8:9] op_sel:[0,1]
	v_mov_b32_e32 v45, v3
	v_pk_fma_f32 v[2:3], v[6:7], v[14:15], v[34:35] op_sel:[0,0,1] op_sel_hi:[1,1,0]
	v_pk_fma_f32 v[6:7], v[6:7], v[14:15], v[34:35] op_sel:[0,0,1] op_sel_hi:[1,0,0] neg_lo:[1,0,0] neg_hi:[1,0,0]
	v_pk_mul_f32 v[42:43], v[30:31], v[10:11] op_sel:[0,1]
	v_mov_b32_e32 v3, v7
	v_pk_fma_f32 v[6:7], v[4:5], v[8:9], v[38:39] op_sel:[0,0,1] op_sel_hi:[1,1,0]
	v_pk_fma_f32 v[4:5], v[4:5], v[8:9], v[38:39] op_sel:[0,0,1] op_sel_hi:[1,0,0] neg_lo:[1,0,0] neg_hi:[1,0,0]
	v_pk_mul_f32 v[36:37], v[0:1], v[28:29] op_sel_hi:[1,0]
	v_mov_b32_e32 v7, v5
	v_pk_fma_f32 v[4:5], v[30:31], v[10:11], v[42:43] op_sel:[0,0,1] op_sel_hi:[1,1,0]
	v_pk_fma_f32 v[8:9], v[30:31], v[10:11], v[42:43] op_sel:[0,0,1] op_sel_hi:[1,0,0] neg_lo:[1,0,0] neg_hi:[1,0,0]
	v_pk_fma_f32 v[10:11], v[0:1], v[12:13], v[36:37] op_sel:[0,1,1] op_sel_hi:[1,1,0]
	v_mov_b32_e32 v5, v9
	v_pk_fma_f32 v[0:1], v[0:1], v[12:13], v[36:37] op_sel:[0,1,1] op_sel_hi:[1,1,0] neg_lo:[1,0,0] neg_hi:[1,0,0]
	v_pk_add_f32 v[8:9], v[6:7], v[4:5]
	v_mov_b32_e32 v0, v10
	v_mov_b32_e32 v11, v1
	v_fmac_f32_e32 v0, -0.5, v8
	v_pk_add_f32 v[12:13], v[6:7], v[4:5] neg_lo:[0,1] neg_hi:[0,1]
	v_fmac_f32_e32 v1, -0.5, v9
	v_fmamk_f32 v8, v13, 0x3f5db3d7, v0
	v_fmamk_f32 v14, v12, 0xbf5db3d7, v1
	v_fmac_f32_e32 v0, 0xbf5db3d7, v13
	v_fmac_f32_e32 v1, 0x3f5db3d7, v12
	v_pk_add_f32 v[12:13], v[16:17], v[44:45]
	v_pk_add_f32 v[6:7], v[10:11], v[6:7]
	;; [unrolled: 1-line block ×4, first 2 shown]
	s_mov_b32 s10, 0x3f5db3d7
	v_pk_add_f32 v[6:7], v[12:13], v[4:5]
	ds_write_b64 v40, v[6:7]
	v_pk_add_f32 v[6:7], v[44:45], v[2:3]
	v_pk_add_f32 v[2:3], v[44:45], v[2:3] neg_lo:[0,1] neg_hi:[0,1]
	v_pk_fma_f32 v[6:7], -0.5, v[6:7], v[16:17] op_sel_hi:[0,1,1]
	v_pk_mul_f32 v[2:3], v[2:3], s[10:11] op_sel_hi:[1,0]
	s_mov_b32 s12, 0.5
	v_pk_add_f32 v[10:11], v[6:7], v[2:3] op_sel:[0,1] op_sel_hi:[1,0] neg_lo:[0,1] neg_hi:[0,1]
	v_pk_add_f32 v[2:3], v[6:7], v[2:3] op_sel:[0,1] op_sel_hi:[1,0]
	v_mov_b32_e32 v6, v10
	v_mov_b32_e32 v10, v1
	s_mov_b32 s11, s12
	s_mov_b32 s13, s10
	v_pk_mul_f32 v[16:17], v[10:11], s[10:11] op_sel_hi:[0,1]
	v_pk_fma_f32 v[18:19], v[0:1], s[12:13], v[16:17] neg_lo:[0,0,1] neg_hi:[0,0,1]
	v_pk_fma_f32 v[0:1], v[0:1], s[12:13], v[16:17] op_sel_hi:[0,1,1]
	v_mov_b32_e32 v7, v3
	v_mov_b32_e32 v19, v1
	v_pk_add_f32 v[0:1], v[6:7], v[18:19]
	s_mov_b32 s2, -0.5
	ds_write_b64 v32, v[0:1] offset:24
	s_mov_b32 s3, s10
	v_pk_mul_f32 v[0:1], v[14:15], s[10:11] op_sel_hi:[0,1]
	v_pk_fma_f32 v[0:1], v[8:9], s[2:3], v[0:1] op_sel_hi:[0,1,1] neg_lo:[0,0,1] neg_hi:[0,0,1]
	v_mov_b32_e32 v3, v11
	v_pk_add_f32 v[4:5], v[12:13], v[4:5] neg_lo:[0,1] neg_hi:[0,1]
	v_pk_add_f32 v[8:9], v[2:3], v[0:1]
	ds_write_b64 v32, v[4:5] offset:72
	v_pk_add_f32 v[4:5], v[6:7], v[18:19] neg_lo:[0,1] neg_hi:[0,1]
	v_pk_add_f32 v[0:1], v[2:3], v[0:1] neg_lo:[0,1] neg_hi:[0,1]
	ds_write_b64 v32, v[8:9] offset:48
	ds_write_b64 v32, v[4:5] offset:96
	;; [unrolled: 1-line block ×3, first 2 shown]
.LBB0_9:
	s_or_b64 exec, exec, s[0:1]
	s_waitcnt lgkmcnt(0)
	; wave barrier
	s_waitcnt lgkmcnt(0)
	ds_read_b64 v[0:1], v40
	v_mad_u64_u32 v[6:7], s[0:1], s6, v20, 0
	v_mov_b32_e32 v2, v7
	v_mad_u64_u32 v[2:3], s[0:1], s7, v20, v[2:3]
	v_mov_b32_e32 v7, v2
	s_waitcnt lgkmcnt(0)
	v_mul_f32_e32 v2, v27, v1
	v_fmac_f32_e32 v2, v26, v0
	v_mul_f32_e32 v0, v27, v0
	s_mov_b32 s0, 0x1c71c71c
	v_fma_f32 v0, v26, v1, -v0
	s_mov_b32 s1, 0x3fac71c7
	v_cvt_f64_f32_e32 v[0:1], v0
	v_cvt_f64_f32_e32 v[2:3], v2
	v_mul_f64 v[0:1], v[0:1], s[0:1]
	v_mad_u64_u32 v[10:11], s[2:3], s4, v21, 0
	v_mul_f64 v[2:3], v[2:3], s[0:1]
	v_cvt_f32_f64_e32 v9, v[0:1]
	v_mov_b32_e32 v0, v11
	v_cvt_f32_f64_e32 v8, v[2:3]
	v_mad_u64_u32 v[12:13], s[2:3], s5, v21, v[0:1]
	ds_read2_b64 v[0:3], v32 offset0:6 offset1:12
	v_mov_b32_e32 v4, s8
	v_mov_b32_e32 v5, s9
	v_lshl_add_u64 v[4:5], v[6:7], 3, v[4:5]
	v_mov_b32_e32 v11, v12
	s_waitcnt lgkmcnt(0)
	v_mul_f32_e32 v6, v25, v1
	v_fmac_f32_e32 v6, v24, v0
	v_mul_f32_e32 v0, v25, v0
	v_fma_f32 v0, v24, v1, -v0
	v_cvt_f64_f32_e32 v[6:7], v6
	v_cvt_f64_f32_e32 v[0:1], v0
	v_lshl_add_u64 v[4:5], v[10:11], 3, v[4:5]
	v_mul_f64 v[6:7], v[6:7], s[0:1]
	v_mul_f64 v[0:1], v[0:1], s[0:1]
	global_store_dwordx2 v[4:5], v[8:9], off
	v_cvt_f32_f64_e32 v6, v[6:7]
	v_cvt_f32_f64_e32 v7, v[0:1]
	v_mad_u64_u32 v[0:1], s[2:3], s4, 48, v[4:5]
	v_mul_f32_e32 v4, v23, v3
	v_fmac_f32_e32 v4, v22, v2
	v_mul_f32_e32 v2, v23, v2
	s_mul_i32 s2, s5, 48
	v_fma_f32 v2, v22, v3, -v2
	v_add_u32_e32 v1, s2, v1
	v_cvt_f64_f32_e32 v[4:5], v4
	v_cvt_f64_f32_e32 v[2:3], v2
	global_store_dwordx2 v[0:1], v[6:7], off
	v_mul_f64 v[4:5], v[4:5], s[0:1]
	v_mul_f64 v[2:3], v[2:3], s[0:1]
	v_mad_u64_u32 v[0:1], s[0:1], s4, 48, v[0:1]
	v_cvt_f32_f64_e32 v4, v[4:5]
	v_cvt_f32_f64_e32 v5, v[2:3]
	v_add_u32_e32 v1, s2, v1
	global_store_dwordx2 v[0:1], v[4:5], off
.LBB0_10:
	s_endpgm
	.section	.rodata,"a",@progbits
	.p2align	6, 0x0
	.amdhsa_kernel bluestein_single_back_len18_dim1_sp_op_CI_CI
		.amdhsa_group_segment_fixed_size 1440
		.amdhsa_private_segment_fixed_size 0
		.amdhsa_kernarg_size 104
		.amdhsa_user_sgpr_count 2
		.amdhsa_user_sgpr_dispatch_ptr 0
		.amdhsa_user_sgpr_queue_ptr 0
		.amdhsa_user_sgpr_kernarg_segment_ptr 1
		.amdhsa_user_sgpr_dispatch_id 0
		.amdhsa_user_sgpr_kernarg_preload_length 0
		.amdhsa_user_sgpr_kernarg_preload_offset 0
		.amdhsa_user_sgpr_private_segment_size 0
		.amdhsa_uses_dynamic_stack 0
		.amdhsa_enable_private_segment 0
		.amdhsa_system_sgpr_workgroup_id_x 1
		.amdhsa_system_sgpr_workgroup_id_y 0
		.amdhsa_system_sgpr_workgroup_id_z 0
		.amdhsa_system_sgpr_workgroup_info 0
		.amdhsa_system_vgpr_workitem_id 0
		.amdhsa_next_free_vgpr 50
		.amdhsa_next_free_sgpr 20
		.amdhsa_accum_offset 52
		.amdhsa_reserve_vcc 1
		.amdhsa_float_round_mode_32 0
		.amdhsa_float_round_mode_16_64 0
		.amdhsa_float_denorm_mode_32 3
		.amdhsa_float_denorm_mode_16_64 3
		.amdhsa_dx10_clamp 1
		.amdhsa_ieee_mode 1
		.amdhsa_fp16_overflow 0
		.amdhsa_tg_split 0
		.amdhsa_exception_fp_ieee_invalid_op 0
		.amdhsa_exception_fp_denorm_src 0
		.amdhsa_exception_fp_ieee_div_zero 0
		.amdhsa_exception_fp_ieee_overflow 0
		.amdhsa_exception_fp_ieee_underflow 0
		.amdhsa_exception_fp_ieee_inexact 0
		.amdhsa_exception_int_div_zero 0
	.end_amdhsa_kernel
	.text
.Lfunc_end0:
	.size	bluestein_single_back_len18_dim1_sp_op_CI_CI, .Lfunc_end0-bluestein_single_back_len18_dim1_sp_op_CI_CI
                                        ; -- End function
	.section	.AMDGPU.csdata,"",@progbits
; Kernel info:
; codeLenInByte = 2340
; NumSgprs: 26
; NumVgprs: 50
; NumAgprs: 0
; TotalNumVgprs: 50
; ScratchSize: 0
; MemoryBound: 0
; FloatMode: 240
; IeeeMode: 1
; LDSByteSize: 1440 bytes/workgroup (compile time only)
; SGPRBlocks: 3
; VGPRBlocks: 6
; NumSGPRsForWavesPerEU: 26
; NumVGPRsForWavesPerEU: 50
; AccumOffset: 52
; Occupancy: 8
; WaveLimiterHint : 1
; COMPUTE_PGM_RSRC2:SCRATCH_EN: 0
; COMPUTE_PGM_RSRC2:USER_SGPR: 2
; COMPUTE_PGM_RSRC2:TRAP_HANDLER: 0
; COMPUTE_PGM_RSRC2:TGID_X_EN: 1
; COMPUTE_PGM_RSRC2:TGID_Y_EN: 0
; COMPUTE_PGM_RSRC2:TGID_Z_EN: 0
; COMPUTE_PGM_RSRC2:TIDIG_COMP_CNT: 0
; COMPUTE_PGM_RSRC3_GFX90A:ACCUM_OFFSET: 12
; COMPUTE_PGM_RSRC3_GFX90A:TG_SPLIT: 0
	.text
	.p2alignl 6, 3212836864
	.fill 256, 4, 3212836864
	.type	__hip_cuid_6253c3c5425f23e8,@object ; @__hip_cuid_6253c3c5425f23e8
	.section	.bss,"aw",@nobits
	.globl	__hip_cuid_6253c3c5425f23e8
__hip_cuid_6253c3c5425f23e8:
	.byte	0                               ; 0x0
	.size	__hip_cuid_6253c3c5425f23e8, 1

	.ident	"AMD clang version 19.0.0git (https://github.com/RadeonOpenCompute/llvm-project roc-6.4.0 25133 c7fe45cf4b819c5991fe208aaa96edf142730f1d)"
	.section	".note.GNU-stack","",@progbits
	.addrsig
	.addrsig_sym __hip_cuid_6253c3c5425f23e8
	.amdgpu_metadata
---
amdhsa.kernels:
  - .agpr_count:     0
    .args:
      - .actual_access:  read_only
        .address_space:  global
        .offset:         0
        .size:           8
        .value_kind:     global_buffer
      - .actual_access:  read_only
        .address_space:  global
        .offset:         8
        .size:           8
        .value_kind:     global_buffer
      - .actual_access:  read_only
        .address_space:  global
        .offset:         16
        .size:           8
        .value_kind:     global_buffer
      - .actual_access:  read_only
        .address_space:  global
        .offset:         24
        .size:           8
        .value_kind:     global_buffer
      - .actual_access:  read_only
        .address_space:  global
        .offset:         32
        .size:           8
        .value_kind:     global_buffer
      - .offset:         40
        .size:           8
        .value_kind:     by_value
      - .address_space:  global
        .offset:         48
        .size:           8
        .value_kind:     global_buffer
      - .address_space:  global
        .offset:         56
        .size:           8
        .value_kind:     global_buffer
      - .address_space:  global
        .offset:         64
        .size:           8
        .value_kind:     global_buffer
      - .address_space:  global
        .offset:         72
        .size:           8
        .value_kind:     global_buffer
      - .offset:         80
        .size:           4
        .value_kind:     by_value
      - .address_space:  global
        .offset:         88
        .size:           8
        .value_kind:     global_buffer
      - .address_space:  global
        .offset:         96
        .size:           8
        .value_kind:     global_buffer
    .group_segment_fixed_size: 1440
    .kernarg_segment_align: 8
    .kernarg_segment_size: 104
    .language:       OpenCL C
    .language_version:
      - 2
      - 0
    .max_flat_workgroup_size: 60
    .name:           bluestein_single_back_len18_dim1_sp_op_CI_CI
    .private_segment_fixed_size: 0
    .sgpr_count:     26
    .sgpr_spill_count: 0
    .symbol:         bluestein_single_back_len18_dim1_sp_op_CI_CI.kd
    .uniform_work_group_size: 1
    .uses_dynamic_stack: false
    .vgpr_count:     50
    .vgpr_spill_count: 0
    .wavefront_size: 64
amdhsa.target:   amdgcn-amd-amdhsa--gfx950
amdhsa.version:
  - 1
  - 2
...

	.end_amdgpu_metadata
